;; amdgpu-corpus repo=ROCm/rocFFT kind=compiled arch=gfx1030 opt=O3
	.text
	.amdgcn_target "amdgcn-amd-amdhsa--gfx1030"
	.amdhsa_code_object_version 6
	.protected	fft_rtc_fwd_len198_factors_11_2_9_wgs_110_tpt_22_sp_ip_CI_unitstride_sbrr_dirReg ; -- Begin function fft_rtc_fwd_len198_factors_11_2_9_wgs_110_tpt_22_sp_ip_CI_unitstride_sbrr_dirReg
	.globl	fft_rtc_fwd_len198_factors_11_2_9_wgs_110_tpt_22_sp_ip_CI_unitstride_sbrr_dirReg
	.p2align	8
	.type	fft_rtc_fwd_len198_factors_11_2_9_wgs_110_tpt_22_sp_ip_CI_unitstride_sbrr_dirReg,@function
fft_rtc_fwd_len198_factors_11_2_9_wgs_110_tpt_22_sp_ip_CI_unitstride_sbrr_dirReg: ; @fft_rtc_fwd_len198_factors_11_2_9_wgs_110_tpt_22_sp_ip_CI_unitstride_sbrr_dirReg
; %bb.0:
	s_load_dwordx4 s[8:11], s[4:5], 0x0
	v_mul_u32_u24_e32 v1, 0xba3, v0
	s_clause 0x1
	s_load_dwordx2 s[2:3], s[4:5], 0x50
	s_load_dwordx2 s[12:13], s[4:5], 0x18
	v_mov_b32_e32 v5, 0
	v_mov_b32_e32 v3, 0
	;; [unrolled: 1-line block ×3, first 2 shown]
	v_lshrrev_b32_e32 v1, 16, v1
	v_mad_u64_u32 v[1:2], null, s6, 5, v[1:2]
	v_mov_b32_e32 v2, v5
	v_mov_b32_e32 v10, v2
	;; [unrolled: 1-line block ×3, first 2 shown]
	s_waitcnt lgkmcnt(0)
	v_cmp_lt_u64_e64 s0, s[10:11], 2
	s_and_b32 vcc_lo, exec_lo, s0
	s_cbranch_vccnz .LBB0_8
; %bb.1:
	s_load_dwordx2 s[0:1], s[4:5], 0x10
	v_mov_b32_e32 v3, 0
	v_mov_b32_e32 v8, v2
	s_add_u32 s6, s12, 8
	v_mov_b32_e32 v4, 0
	v_mov_b32_e32 v7, v1
	s_addc_u32 s7, s13, 0
	s_mov_b64 s[16:17], 1
	s_waitcnt lgkmcnt(0)
	s_add_u32 s14, s0, 8
	s_addc_u32 s15, s1, 0
.LBB0_2:                                ; =>This Inner Loop Header: Depth=1
	s_load_dwordx2 s[18:19], s[14:15], 0x0
                                        ; implicit-def: $vgpr9_vgpr10
	s_mov_b32 s0, exec_lo
	s_waitcnt lgkmcnt(0)
	v_or_b32_e32 v6, s19, v8
	v_cmpx_ne_u64_e32 0, v[5:6]
	s_xor_b32 s1, exec_lo, s0
	s_cbranch_execz .LBB0_4
; %bb.3:                                ;   in Loop: Header=BB0_2 Depth=1
	v_cvt_f32_u32_e32 v2, s18
	v_cvt_f32_u32_e32 v6, s19
	s_sub_u32 s0, 0, s18
	s_subb_u32 s20, 0, s19
	v_fmac_f32_e32 v2, 0x4f800000, v6
	v_rcp_f32_e32 v2, v2
	v_mul_f32_e32 v2, 0x5f7ffffc, v2
	v_mul_f32_e32 v6, 0x2f800000, v2
	v_trunc_f32_e32 v6, v6
	v_fmac_f32_e32 v2, 0xcf800000, v6
	v_cvt_u32_f32_e32 v6, v6
	v_cvt_u32_f32_e32 v2, v2
	v_mul_lo_u32 v9, s0, v6
	v_mul_hi_u32 v10, s0, v2
	v_mul_lo_u32 v11, s20, v2
	v_add_nc_u32_e32 v9, v10, v9
	v_mul_lo_u32 v10, s0, v2
	v_add_nc_u32_e32 v9, v9, v11
	v_mul_hi_u32 v11, v2, v10
	v_mul_lo_u32 v12, v2, v9
	v_mul_hi_u32 v13, v2, v9
	v_mul_hi_u32 v14, v6, v10
	v_mul_lo_u32 v10, v6, v10
	v_mul_hi_u32 v15, v6, v9
	v_mul_lo_u32 v9, v6, v9
	v_add_co_u32 v11, vcc_lo, v11, v12
	v_add_co_ci_u32_e32 v12, vcc_lo, 0, v13, vcc_lo
	v_add_co_u32 v10, vcc_lo, v11, v10
	v_add_co_ci_u32_e32 v10, vcc_lo, v12, v14, vcc_lo
	v_add_co_ci_u32_e32 v11, vcc_lo, 0, v15, vcc_lo
	v_add_co_u32 v9, vcc_lo, v10, v9
	v_add_co_ci_u32_e32 v10, vcc_lo, 0, v11, vcc_lo
	v_add_co_u32 v2, vcc_lo, v2, v9
	v_add_co_ci_u32_e32 v6, vcc_lo, v6, v10, vcc_lo
	v_mul_hi_u32 v9, s0, v2
	v_mul_lo_u32 v11, s20, v2
	v_mul_lo_u32 v10, s0, v6
	v_add_nc_u32_e32 v9, v9, v10
	v_mul_lo_u32 v10, s0, v2
	v_add_nc_u32_e32 v9, v9, v11
	v_mul_hi_u32 v11, v2, v10
	v_mul_lo_u32 v12, v2, v9
	v_mul_hi_u32 v13, v2, v9
	v_mul_hi_u32 v14, v6, v10
	v_mul_lo_u32 v10, v6, v10
	v_mul_hi_u32 v15, v6, v9
	v_mul_lo_u32 v9, v6, v9
	v_add_co_u32 v11, vcc_lo, v11, v12
	v_add_co_ci_u32_e32 v12, vcc_lo, 0, v13, vcc_lo
	v_add_co_u32 v10, vcc_lo, v11, v10
	v_add_co_ci_u32_e32 v10, vcc_lo, v12, v14, vcc_lo
	v_add_co_ci_u32_e32 v11, vcc_lo, 0, v15, vcc_lo
	v_add_co_u32 v9, vcc_lo, v10, v9
	v_add_co_ci_u32_e32 v10, vcc_lo, 0, v11, vcc_lo
	v_add_co_u32 v2, vcc_lo, v2, v9
	v_add_co_ci_u32_e32 v6, vcc_lo, v6, v10, vcc_lo
	v_mul_hi_u32 v15, v7, v2
	v_mad_u64_u32 v[11:12], null, v8, v2, 0
	v_mad_u64_u32 v[9:10], null, v7, v6, 0
	v_mad_u64_u32 v[13:14], null, v8, v6, 0
	v_add_co_u32 v2, vcc_lo, v15, v9
	v_add_co_ci_u32_e32 v6, vcc_lo, 0, v10, vcc_lo
	v_add_co_u32 v2, vcc_lo, v2, v11
	v_add_co_ci_u32_e32 v2, vcc_lo, v6, v12, vcc_lo
	v_add_co_ci_u32_e32 v6, vcc_lo, 0, v14, vcc_lo
	v_add_co_u32 v2, vcc_lo, v2, v13
	v_add_co_ci_u32_e32 v6, vcc_lo, 0, v6, vcc_lo
	v_mul_lo_u32 v11, s19, v2
	v_mad_u64_u32 v[9:10], null, s18, v2, 0
	v_mul_lo_u32 v12, s18, v6
	v_sub_co_u32 v9, vcc_lo, v7, v9
	v_add3_u32 v10, v10, v12, v11
	v_sub_nc_u32_e32 v11, v8, v10
	v_subrev_co_ci_u32_e64 v11, s0, s19, v11, vcc_lo
	v_add_co_u32 v12, s0, v2, 2
	v_add_co_ci_u32_e64 v13, s0, 0, v6, s0
	v_sub_co_u32 v14, s0, v9, s18
	v_sub_co_ci_u32_e32 v10, vcc_lo, v8, v10, vcc_lo
	v_subrev_co_ci_u32_e64 v11, s0, 0, v11, s0
	v_cmp_le_u32_e32 vcc_lo, s18, v14
	v_cmp_eq_u32_e64 s0, s19, v10
	v_cndmask_b32_e64 v14, 0, -1, vcc_lo
	v_cmp_le_u32_e32 vcc_lo, s19, v11
	v_cndmask_b32_e64 v15, 0, -1, vcc_lo
	v_cmp_le_u32_e32 vcc_lo, s18, v9
	;; [unrolled: 2-line block ×3, first 2 shown]
	v_cndmask_b32_e64 v16, 0, -1, vcc_lo
	v_cmp_eq_u32_e32 vcc_lo, s19, v11
	v_cndmask_b32_e64 v9, v16, v9, s0
	v_cndmask_b32_e32 v11, v15, v14, vcc_lo
	v_add_co_u32 v14, vcc_lo, v2, 1
	v_add_co_ci_u32_e32 v15, vcc_lo, 0, v6, vcc_lo
	v_cmp_ne_u32_e32 vcc_lo, 0, v11
	v_cndmask_b32_e32 v10, v15, v13, vcc_lo
	v_cndmask_b32_e32 v11, v14, v12, vcc_lo
	v_cmp_ne_u32_e32 vcc_lo, 0, v9
	v_cndmask_b32_e32 v10, v6, v10, vcc_lo
	v_cndmask_b32_e32 v9, v2, v11, vcc_lo
.LBB0_4:                                ;   in Loop: Header=BB0_2 Depth=1
	s_andn2_saveexec_b32 s0, s1
	s_cbranch_execz .LBB0_6
; %bb.5:                                ;   in Loop: Header=BB0_2 Depth=1
	v_cvt_f32_u32_e32 v2, s18
	s_sub_i32 s1, 0, s18
	v_rcp_iflag_f32_e32 v2, v2
	v_mul_f32_e32 v2, 0x4f7ffffe, v2
	v_cvt_u32_f32_e32 v2, v2
	v_mul_lo_u32 v6, s1, v2
	v_mul_hi_u32 v6, v2, v6
	v_add_nc_u32_e32 v2, v2, v6
	v_mul_hi_u32 v2, v7, v2
	v_mul_lo_u32 v6, v2, s18
	v_add_nc_u32_e32 v9, 1, v2
	v_sub_nc_u32_e32 v6, v7, v6
	v_subrev_nc_u32_e32 v10, s18, v6
	v_cmp_le_u32_e32 vcc_lo, s18, v6
	v_cndmask_b32_e32 v6, v6, v10, vcc_lo
	v_cndmask_b32_e32 v2, v2, v9, vcc_lo
	v_mov_b32_e32 v10, v5
	v_cmp_le_u32_e32 vcc_lo, s18, v6
	v_add_nc_u32_e32 v9, 1, v2
	v_cndmask_b32_e32 v9, v2, v9, vcc_lo
.LBB0_6:                                ;   in Loop: Header=BB0_2 Depth=1
	s_or_b32 exec_lo, exec_lo, s0
	s_load_dwordx2 s[0:1], s[6:7], 0x0
	v_mul_lo_u32 v2, v10, s18
	v_mul_lo_u32 v6, v9, s19
	v_mad_u64_u32 v[11:12], null, v9, s18, 0
	s_add_u32 s16, s16, 1
	s_addc_u32 s17, s17, 0
	s_add_u32 s6, s6, 8
	s_addc_u32 s7, s7, 0
	;; [unrolled: 2-line block ×3, first 2 shown]
	v_add3_u32 v2, v12, v6, v2
	v_sub_co_u32 v6, vcc_lo, v7, v11
	v_sub_co_ci_u32_e32 v2, vcc_lo, v8, v2, vcc_lo
	s_waitcnt lgkmcnt(0)
	v_mul_lo_u32 v7, s1, v6
	v_mul_lo_u32 v2, s0, v2
	v_mad_u64_u32 v[3:4], null, s0, v6, v[3:4]
	v_cmp_ge_u64_e64 s0, s[16:17], s[10:11]
	s_and_b32 vcc_lo, exec_lo, s0
	v_add3_u32 v4, v7, v4, v2
	s_cbranch_vccnz .LBB0_8
; %bb.7:                                ;   in Loop: Header=BB0_2 Depth=1
	v_mov_b32_e32 v7, v9
	v_mov_b32_e32 v8, v10
	s_branch .LBB0_2
.LBB0_8:
	s_lshl_b64 s[0:1], s[10:11], 3
	v_mul_hi_u32 v2, 0xba2e8bb, v0
	s_add_u32 s0, s12, s0
	s_addc_u32 s1, s13, s1
	v_mov_b32_e32 v5, 0
	s_load_dwordx2 s[0:1], s[0:1], 0x0
	s_load_dwordx2 s[4:5], s[4:5], 0x20
	v_mov_b32_e32 v18, 0
                                        ; implicit-def: $vgpr29
                                        ; implicit-def: $vgpr27
                                        ; implicit-def: $vgpr25
                                        ; implicit-def: $vgpr21
                                        ; implicit-def: $vgpr13
                                        ; implicit-def: $vgpr11
                                        ; implicit-def: $vgpr15
                                        ; implicit-def: $vgpr23
	v_mul_u32_u24_e32 v2, 22, v2
	v_sub_nc_u32_e32 v19, v0, v2
	s_waitcnt lgkmcnt(0)
	v_mul_lo_u32 v6, s0, v10
	v_mul_lo_u32 v7, s1, v9
	v_mad_u64_u32 v[16:17], null, s0, v9, v[3:4]
	v_cmp_gt_u64_e32 vcc_lo, s[4:5], v[9:10]
	v_mov_b32_e32 v4, 0
                                        ; implicit-def: $vgpr9
	v_add3_u32 v17, v7, v17, v6
                                        ; implicit-def: $vgpr7
	s_and_saveexec_b32 s1, vcc_lo
	s_cbranch_execz .LBB0_12
; %bb.9:
	v_mov_b32_e32 v4, 0
	v_mov_b32_e32 v5, 0
	s_mov_b32 s4, exec_lo
                                        ; implicit-def: $vgpr22
                                        ; implicit-def: $vgpr14
                                        ; implicit-def: $vgpr8
                                        ; implicit-def: $vgpr6
                                        ; implicit-def: $vgpr10
                                        ; implicit-def: $vgpr12
                                        ; implicit-def: $vgpr20
                                        ; implicit-def: $vgpr24
                                        ; implicit-def: $vgpr26
                                        ; implicit-def: $vgpr28
	v_cmpx_gt_u32_e32 18, v19
; %bb.10:
	v_mov_b32_e32 v20, 0
	v_lshlrev_b64 v[2:3], 3, v[16:17]
	v_lshlrev_b64 v[4:5], 3, v[19:20]
	v_add_co_u32 v0, s0, s2, v2
	v_add_co_ci_u32_e64 v3, s0, s3, v3, s0
	v_add_co_u32 v2, s0, v0, v4
	v_add_co_ci_u32_e64 v3, s0, v3, v5, s0
	s_clause 0xa
	global_load_dwordx2 v[4:5], v[2:3], off
	global_load_dwordx2 v[28:29], v[2:3], off offset:144
	global_load_dwordx2 v[26:27], v[2:3], off offset:288
	;; [unrolled: 1-line block ×10, first 2 shown]
; %bb.11:
	s_or_b32 exec_lo, exec_lo, s4
	v_mov_b32_e32 v18, v19
.LBB0_12:
	s_or_b32 exec_lo, exec_lo, s1
	v_mul_hi_u32 v0, 0xcccccccd, v1
	s_waitcnt vmcnt(0)
	v_add_f32_e32 v41, v28, v6
	v_sub_f32_e32 v43, v28, v6
	v_add_f32_e32 v32, v29, v7
	v_sub_f32_e32 v31, v29, v7
	v_add_f32_e32 v42, v26, v8
	v_mul_f32_e32 v53, 0x3ed4b147, v41
	v_mul_f32_e32 v57, 0xbf68dda4, v43
	v_lshrrev_b32_e32 v0, 2, v0
	v_sub_f32_e32 v34, v27, v9
	v_mul_f32_e32 v54, 0xbf27a4f4, v42
	v_fmamk_f32 v2, v31, 0xbf68dda4, v53
	v_fma_f32 v3, 0x3ed4b147, v32, -v57
	v_lshl_add_u32 v0, v0, 2, v0
	v_add_f32_e32 v44, v24, v10
	v_sub_f32_e32 v35, v25, v11
	v_add_f32_e32 v2, v4, v2
	v_add_f32_e32 v46, v20, v14
	v_sub_nc_u32_e32 v0, v1, v0
	v_add_f32_e32 v1, v5, v3
	v_fmamk_f32 v3, v34, 0xbf4178ce, v54
	v_mul_f32_e32 v56, 0xbf75a155, v44
	v_sub_f32_e32 v45, v26, v8
	v_sub_f32_e32 v37, v21, v15
	v_mul_f32_e32 v51, 0xbe11bafb, v46
	v_add_f32_e32 v2, v2, v3
	v_fmamk_f32 v3, v35, 0x3e903f40, v56
	v_add_f32_e32 v33, v27, v9
	v_mul_f32_e32 v58, 0xbf4178ce, v45
	v_sub_f32_e32 v47, v24, v10
	v_mul_f32_e32 v61, 0xbe11bafb, v41
	v_add_f32_e32 v2, v3, v2
	v_fmamk_f32 v3, v37, 0x3f7d64f0, v51
	v_mul_f32_e32 v69, 0xbf7d64f0, v43
	v_fma_f32 v30, 0xbf27a4f4, v33, -v58
	v_add_f32_e32 v36, v25, v11
	v_mul_f32_e32 v59, 0x3e903f40, v47
	v_sub_f32_e32 v49, v20, v14
	v_add_f32_e32 v2, v2, v3
	v_fmamk_f32 v3, v31, 0xbf7d64f0, v61
	v_mul_f32_e32 v66, 0xbf75a155, v42
	v_fma_f32 v62, 0xbe11bafb, v32, -v69
	v_mul_f32_e32 v70, 0x3e903f40, v45
	v_add_f32_e32 v1, v1, v30
	v_fma_f32 v30, 0xbf75a155, v36, -v59
	v_add_f32_e32 v38, v21, v15
	v_mul_f32_e32 v60, 0x3f7d64f0, v49
	v_add_f32_e32 v48, v12, v22
	v_add_f32_e32 v3, v4, v3
	v_fmamk_f32 v63, v34, 0x3e903f40, v66
	v_mul_f32_e32 v65, 0x3ed4b147, v44
	v_add_f32_e32 v64, v5, v62
	v_fma_f32 v67, 0xbf75a155, v33, -v70
	v_mul_f32_e32 v68, 0x3f68dda4, v47
	v_add_f32_e32 v1, v30, v1
	v_sub_f32_e32 v50, v12, v22
	v_fma_f32 v30, 0xbe11bafb, v38, -v60
	v_sub_f32_e32 v39, v13, v23
	v_mul_f32_e32 v52, 0x3f575c64, v48
	v_add_f32_e32 v3, v3, v63
	v_fmamk_f32 v63, v35, 0x3f68dda4, v65
	v_mul_f32_e32 v62, 0x3f575c64, v46
	v_add_f32_e32 v64, v64, v67
	v_fma_f32 v71, 0x3ed4b147, v36, -v68
	v_mul_f32_e32 v67, 0xbf0a6770, v49
	v_add_f32_e32 v40, v13, v23
	v_mul_f32_e32 v55, 0x3f0a6770, v50
	v_add_f32_e32 v1, v1, v30
	v_fmamk_f32 v30, v39, 0x3f0a6770, v52
	v_add_f32_e32 v3, v63, v3
	v_fmamk_f32 v72, v37, 0xbf0a6770, v62
	v_mul_f32_e32 v63, 0xbf27a4f4, v48
	v_add_f32_e32 v71, v71, v64
	v_fma_f32 v73, 0x3f575c64, v38, -v67
	v_mul_f32_e32 v64, 0xbf4178ce, v50
	v_fma_f32 v74, 0x3f575c64, v40, -v55
	v_add_f32_e32 v72, v3, v72
	v_fmamk_f32 v75, v39, 0xbf4178ce, v63
	v_add_f32_e32 v71, v71, v73
	v_fma_f32 v73, 0xbf27a4f4, v40, -v64
	v_add_f32_e32 v2, v2, v30
	v_mul_u32_u24_e32 v30, 0xc6, v0
	v_add_f32_e32 v3, v1, v74
	v_add_f32_e32 v0, v72, v75
	;; [unrolled: 1-line block ×3, first 2 shown]
	s_mov_b32 s1, exec_lo
	v_lshlrev_b32_e32 v30, 3, v30
	v_cmpx_gt_u32_e32 18, v19
	s_cbranch_execz .LBB0_14
; %bb.13:
	v_mul_f32_e32 v73, 0xbe903f40, v43
	v_mul_f32_e32 v75, 0xbf75a155, v41
	;; [unrolled: 1-line block ×5, first 2 shown]
	v_fmamk_f32 v71, v32, 0xbf75a155, v73
	v_fmamk_f32 v72, v31, 0x3e903f40, v75
	v_mul_f32_e32 v78, 0xbf27a4f4, v44
	v_fmamk_f32 v80, v33, 0x3f575c64, v74
	v_fmamk_f32 v81, v34, 0xbf0a6770, v76
	v_add_f32_e32 v71, v5, v71
	v_add_f32_e32 v72, v4, v72
	v_mul_f32_e32 v79, 0x3f68dda4, v49
	v_mul_f32_e32 v82, 0x3ed4b147, v46
	v_fmamk_f32 v83, v36, 0xbf27a4f4, v77
	v_add_f32_e32 v71, v71, v80
	v_fmamk_f32 v80, v35, 0x3f4178ce, v78
	v_add_f32_e32 v72, v72, v81
	v_fmamk_f32 v81, v38, 0x3ed4b147, v79
	v_fmamk_f32 v84, v37, 0xbf68dda4, v82
	v_add_f32_e32 v71, v83, v71
	v_mul_f32_e32 v85, 0xbf4178ce, v43
	v_add_f32_e32 v72, v80, v72
	v_mul_f32_e32 v80, 0xbf7d64f0, v50
	v_mul_f32_e32 v88, 0x3f7d64f0, v45
	v_add_f32_e32 v71, v71, v81
	v_fmamk_f32 v87, v32, 0xbf27a4f4, v85
	v_add_f32_e32 v81, v72, v84
	v_fmamk_f32 v72, v40, 0xbe11bafb, v80
	v_mul_f32_e32 v84, 0xbf27a4f4, v41
	v_mul_f32_e32 v89, 0xbe11bafb, v42
	;; [unrolled: 1-line block ×3, first 2 shown]
	v_add_f32_e32 v87, v5, v87
	v_add_f32_e32 v72, v71, v72
	v_fmamk_f32 v71, v31, 0x3f4178ce, v84
	v_fmamk_f32 v90, v33, 0xbe11bafb, v88
	v_mul_f32_e32 v91, 0xbf0a6770, v47
	v_fmamk_f32 v92, v34, 0xbf7d64f0, v89
	v_mul_f32_e32 v93, 0x3f575c64, v44
	v_add_f32_e32 v71, v4, v71
	v_fmamk_f32 v86, v39, 0x3f7d64f0, v83
	v_add_f32_e32 v87, v87, v90
	v_fmamk_f32 v90, v36, 0x3f575c64, v91
	v_fmamk_f32 v95, v35, 0x3f0a6770, v93
	v_add_f32_e32 v92, v71, v92
	v_mul_f32_e32 v94, 0xbe903f40, v49
	v_add_f32_e32 v71, v81, v86
	v_mul_f32_e32 v81, 0xbf75a155, v46
	v_add_f32_e32 v86, v90, v87
	v_add_f32_e32 v90, v95, v92
	v_mul_f32_e32 v92, 0xbe11bafb, v32
	v_fmamk_f32 v87, v38, 0xbf75a155, v94
	v_fmamk_f32 v95, v37, 0x3e903f40, v81
	v_mul_f32_e32 v97, 0xbf75a155, v33
	v_mul_f32_e32 v98, 0x3e903f40, v34
	v_add_f32_e32 v69, v92, v69
	v_mul_f32_e32 v92, 0xbf7d64f0, v31
	v_add_f32_e32 v86, v86, v87
	v_add_f32_e32 v87, v90, v95
	;; [unrolled: 1-line block ×4, first 2 shown]
	v_mul_f32_e32 v95, 0x3ed4b147, v36
	v_sub_f32_e32 v61, v61, v92
	v_sub_f32_e32 v66, v66, v98
	v_mul_f32_e32 v92, 0x3f68dda4, v35
	v_add_f32_e32 v69, v69, v70
	v_add_f32_e32 v68, v95, v68
	;; [unrolled: 1-line block ×3, first 2 shown]
	v_mul_f32_e32 v96, 0x3f68dda4, v50
	v_mul_f32_e32 v70, 0x3f575c64, v38
	v_add_f32_e32 v29, v5, v29
	v_add_f32_e32 v68, v68, v69
	;; [unrolled: 1-line block ×3, first 2 shown]
	v_sub_f32_e32 v69, v65, v92
	v_fmamk_f32 v90, v40, 0x3ed4b147, v96
	v_add_f32_e32 v67, v70, v67
	v_mul_f32_e32 v70, 0xbf0a6770, v37
	v_add_f32_e32 v28, v4, v28
	v_add_f32_e32 v61, v69, v61
	v_mul_f32_e32 v69, 0x3ed4b147, v32
	v_add_f32_e32 v66, v86, v90
	v_add_f32_e32 v67, v68, v67
	v_mul_f32_e32 v68, 0xbf27a4f4, v40
	v_sub_f32_e32 v62, v62, v70
	v_mul_f32_e32 v70, 0xbf4178ce, v39
	v_mul_f32_e32 v86, 0xbf27a4f4, v33
	v_add_f32_e32 v57, v69, v57
	v_add_f32_e32 v27, v29, v27
	;; [unrolled: 1-line block ×4, first 2 shown]
	v_sub_f32_e32 v62, v63, v70
	v_add_f32_e32 v63, v86, v58
	v_mul_f32_e32 v68, 0xbf68dda4, v31
	v_add_f32_e32 v57, v5, v57
	v_mul_f32_e32 v69, 0xbf75a155, v36
	v_add_f32_e32 v26, v28, v26
	v_add_f32_e32 v25, v27, v25
	;; [unrolled: 1-line block ×3, first 2 shown]
	v_mul_f32_e32 v64, 0xbf4178ce, v34
	v_sub_f32_e32 v53, v53, v68
	v_add_f32_e32 v57, v57, v63
	v_add_f32_e32 v59, v69, v59
	v_mul_f32_e32 v63, 0xbe11bafb, v38
	v_add_f32_e32 v24, v26, v24
	v_add_f32_e32 v21, v25, v21
	v_sub_f32_e32 v54, v54, v64
	v_add_f32_e32 v53, v4, v53
	v_mul_f32_e32 v64, 0x3e903f40, v35
	v_add_f32_e32 v59, v59, v57
	v_add_f32_e32 v60, v63, v60
	;; [unrolled: 1-line block ×5, first 2 shown]
	v_sub_f32_e32 v54, v56, v64
	v_mul_f32_e32 v56, 0x3f7d64f0, v37
	v_add_f32_e32 v59, v59, v60
	v_mul_f32_e32 v60, 0x3f575c64, v40
	v_mul_f32_e32 v43, 0xbf0a6770, v43
	v_add_f32_e32 v13, v13, v23
	v_add_f32_e32 v20, v20, v12
	;; [unrolled: 1-line block ×3, first 2 shown]
	v_sub_f32_e32 v51, v51, v56
	v_mul_f32_e32 v54, 0x3f0a6770, v39
	v_add_f32_e32 v55, v60, v55
	v_fmamk_f32 v56, v32, 0x3f575c64, v43
	v_mul_f32_e32 v45, 0xbf68dda4, v45
	v_add_f32_e32 v13, v15, v13
	v_add_f32_e32 v15, v20, v22
	;; [unrolled: 1-line block ×3, first 2 shown]
	v_sub_f32_e32 v53, v52, v54
	v_add_f32_e32 v52, v59, v55
	v_add_f32_e32 v54, v5, v56
	v_fmamk_f32 v55, v33, 0x3ed4b147, v45
	v_mul_f32_e32 v47, 0xbf7d64f0, v47
	v_add_f32_e32 v11, v11, v13
	v_add_f32_e32 v13, v14, v15
	v_fma_f32 v14, 0xbf75a155, v32, -v73
	v_add_f32_e32 v51, v51, v53
	v_add_f32_e32 v53, v54, v55
	v_fmamk_f32 v54, v36, 0xbe11bafb, v47
	v_mul_f32_e32 v29, 0xbf4178ce, v49
	v_mul_f32_e32 v28, 0x3f575c64, v41
	v_add_f32_e32 v9, v9, v11
	v_add_f32_e32 v10, v10, v13
	;; [unrolled: 1-line block ×3, first 2 shown]
	v_fma_f32 v14, 0x3f575c64, v33, -v74
	v_fmac_f32_e32 v75, 0xbe903f40, v31
	v_add_f32_e32 v41, v54, v53
	v_fmamk_f32 v27, v38, 0xbf27a4f4, v29
	v_fmamk_f32 v26, v31, 0x3f0a6770, v28
	v_mul_f32_e32 v42, 0x3ed4b147, v42
	v_add_f32_e32 v7, v7, v9
	v_add_f32_e32 v8, v8, v10
	;; [unrolled: 1-line block ×3, first 2 shown]
	v_fma_f32 v10, 0xbf27a4f4, v36, -v77
	v_add_f32_e32 v13, v4, v75
	v_fmac_f32_e32 v76, 0x3f0a6770, v34
	v_add_f32_e32 v25, v41, v27
	v_add_f32_e32 v26, v4, v26
	v_fmamk_f32 v41, v34, 0x3f68dda4, v42
	v_mul_f32_e32 v21, 0xbe11bafb, v44
	v_add_f32_e32 v6, v6, v8
	v_fma_f32 v8, 0xbf27a4f4, v32, -v85
	v_add_f32_e32 v9, v10, v9
	v_fma_f32 v10, 0x3ed4b147, v38, -v79
	v_add_f32_e32 v13, v13, v76
	v_fmac_f32_e32 v78, 0xbf4178ce, v35
	v_add_f32_e32 v26, v26, v41
	v_fmamk_f32 v23, v35, 0x3f7d64f0, v21
	v_mul_f32_e32 v41, 0xbf27a4f4, v46
	v_add_f32_e32 v8, v5, v8
	v_fma_f32 v14, 0xbe11bafb, v33, -v88
	v_add_f32_e32 v9, v9, v10
	v_fma_f32 v10, 0xbe11bafb, v40, -v80
	v_add_f32_e32 v13, v78, v13
	v_fmac_f32_e32 v82, 0x3f68dda4, v37
	v_add_f32_e32 v20, v23, v26
	v_fmamk_f32 v22, v37, 0x3f4178ce, v41
	v_mul_f32_e32 v23, 0xbf75a155, v48
	v_add_f32_e32 v8, v8, v14
	v_fma_f32 v14, 0x3f575c64, v36, -v91
	v_add_f32_e32 v9, v9, v10
	v_add_f32_e32 v10, v13, v82
	v_fmac_f32_e32 v83, 0xbf7d64f0, v39
	v_add_f32_e32 v15, v20, v22
	v_fmamk_f32 v20, v39, 0x3e903f40, v23
	v_fmac_f32_e32 v84, 0xbf4178ce, v31
	v_add_f32_e32 v13, v14, v8
	v_add_f32_e32 v8, v10, v83
	v_fma_f32 v10, 0x3f575c64, v32, -v43
	v_fmac_f32_e32 v28, 0xbf0a6770, v31
	v_add_f32_e32 v11, v15, v20
	v_fma_f32 v14, 0xbf75a155, v38, -v94
	v_add_f32_e32 v15, v4, v84
	v_fmac_f32_e32 v89, 0x3f7d64f0, v34
	v_add_f32_e32 v5, v5, v10
	v_fma_f32 v10, 0x3ed4b147, v33, -v45
	v_add_f32_e32 v4, v4, v28
	v_fmac_f32_e32 v42, 0xbf68dda4, v34
	v_add_f32_e32 v13, v13, v14
	v_add_f32_e32 v14, v15, v89
	v_fmac_f32_e32 v93, 0xbf0a6770, v35
	v_mul_f32_e32 v27, 0xbe903f40, v50
	v_add_f32_e32 v5, v5, v10
	v_fma_f32 v10, 0xbe11bafb, v36, -v47
	v_add_f32_e32 v4, v4, v42
	v_fmac_f32_e32 v21, 0xbf7d64f0, v35
	v_mul_f32_e32 v97, 0x3ed4b147, v48
	v_add_f32_e32 v14, v93, v14
	v_fmac_f32_e32 v81, 0xbe903f40, v37
	v_fmamk_f32 v24, v40, 0xbf75a155, v27
	v_add_f32_e32 v5, v10, v5
	v_fma_f32 v10, 0xbf27a4f4, v38, -v29
	v_add_f32_e32 v4, v21, v4
	v_fmac_f32_e32 v41, 0xbf4178ce, v37
	v_mul_u32_u24_e32 v20, 0x58, v19
	v_fmamk_f32 v95, v39, 0xbf68dda4, v97
	v_fma_f32 v15, 0x3ed4b147, v40, -v96
	v_add_f32_e32 v14, v14, v81
	v_fmac_f32_e32 v97, 0x3f68dda4, v39
	v_add_f32_e32 v12, v25, v24
	v_add_f32_e32 v10, v5, v10
	v_fma_f32 v21, 0xbf75a155, v40, -v27
	v_add_f32_e32 v22, v4, v41
	v_fmac_f32_e32 v23, 0xbe903f40, v39
	v_add3_u32 v20, 0, v20, v30
	v_add_f32_e32 v57, v61, v62
	v_add_f32_e32 v65, v87, v95
	;; [unrolled: 1-line block ×6, first 2 shown]
	ds_write2_b64 v20, v[6:7], v[11:12] offset1:1
	ds_write2_b64 v20, v[51:52], v[57:58] offset0:2 offset1:3
	ds_write2_b64 v20, v[65:66], v[71:72] offset0:4 offset1:5
	;; [unrolled: 1-line block ×4, first 2 shown]
	ds_write_b64 v20, v[13:14] offset:80
.LBB0_14:
	s_or_b32 exec_lo, exec_lo, s1
	v_lshlrev_b32_e32 v20, 3, v19
	s_waitcnt lgkmcnt(0)
	s_barrier
	buffer_gl0_inv
	v_cmp_gt_u32_e64 s0, 11, v19
	v_add3_u32 v26, 0, v20, v30
	v_add3_u32 v25, 0, v30, v20
	ds_read2_b64 v[4:7], v26 offset0:66 offset1:99
	ds_read2_b64 v[8:11], v26 offset0:22 offset1:44
	;; [unrolled: 1-line block ×3, first 2 shown]
	ds_read_b64 v[23:24], v25
	ds_read_b64 v[21:22], v26 offset:1320
	s_and_saveexec_b32 s1, s0
	s_cbranch_execz .LBB0_16
; %bb.15:
	ds_read2_b64 v[0:3], v26 offset0:88 offset1:187
.LBB0_16:
	s_or_b32 exec_lo, exec_lo, s1
	v_add_nc_u16 v33, v19, 22
	v_add_nc_u16 v34, v19, 44
	;; [unrolled: 1-line block ×3, first 2 shown]
	v_add_nc_u32_e32 v32, -11, v19
	v_and_b32_e32 v27, 0xff, v33
	v_and_b32_e32 v28, 0xff, v34
	;; [unrolled: 1-line block ×3, first 2 shown]
	v_mul_lo_u16 v27, 0x75, v27
	v_mul_lo_u16 v28, 0x75, v28
	;; [unrolled: 1-line block ×3, first 2 shown]
	v_lshrrev_b16 v27, 8, v27
	v_lshrrev_b16 v36, 8, v28
	;; [unrolled: 1-line block ×3, first 2 shown]
	v_mov_b32_e32 v29, 0
	v_sub_nc_u16 v28, v33, v27
	v_sub_nc_u16 v31, v34, v36
	;; [unrolled: 1-line block ×3, first 2 shown]
	v_lshrrev_b16 v39, 1, v28
	v_lshrrev_b16 v31, 1, v31
	v_cndmask_b32_e64 v28, v32, v19, s0
	v_lshrrev_b16 v38, 1, v38
	v_and_b32_e32 v39, 0x7f, v39
	v_and_b32_e32 v40, 0x7f, v31
	v_lshlrev_b64 v[31:32], 3, v[28:29]
	v_and_b32_e32 v29, 0x7f, v38
	v_lshlrev_b32_e32 v28, 3, v28
	v_add_nc_u16 v27, v39, v27
	v_add_nc_u16 v36, v40, v36
	;; [unrolled: 1-line block ×3, first 2 shown]
	v_add_co_u32 v31, s1, s8, v31
	v_lshrrev_b16 v39, 3, v27
	v_lshrrev_b16 v40, 3, v36
	v_lshrrev_b16 v29, 3, v29
	v_add_co_ci_u32_e64 v32, s1, s9, v32, s1
	v_mul_lo_u16 v36, v39, 11
	v_mul_lo_u16 v37, v40, 11
	;; [unrolled: 1-line block ×3, first 2 shown]
	global_load_dwordx2 v[31:32], v[31:32], off
	v_mov_b32_e32 v27, 3
	v_sub_nc_u16 v33, v33, v36
	v_sub_nc_u16 v34, v34, v37
	;; [unrolled: 1-line block ×3, first 2 shown]
	v_cmp_lt_u32_e64 s1, 10, v19
	v_and_b32_e32 v39, 0xffff, v39
	v_lshlrev_b32_sdwa v41, v27, v33 dst_sel:DWORD dst_unused:UNUSED_PAD src0_sel:DWORD src1_sel:BYTE_0
	v_lshlrev_b32_sdwa v42, v27, v34 dst_sel:DWORD dst_unused:UNUSED_PAD src0_sel:DWORD src1_sel:BYTE_0
	;; [unrolled: 1-line block ×3, first 2 shown]
	v_cndmask_b32_e64 v44, 0, 0xb0, s1
	s_clause 0x2
	global_load_dwordx2 v[33:34], v41, s[8:9]
	global_load_dwordx2 v[35:36], v42, s[8:9]
	;; [unrolled: 1-line block ×3, first 2 shown]
	v_and_b32_e32 v40, 0xffff, v40
	v_mad_u32_u24 v39, 0xb0, v39, 0
	v_add_nc_u32_e32 v44, 0, v44
	v_and_b32_e32 v29, 0xffff, v29
	s_waitcnt vmcnt(0) lgkmcnt(0)
	v_mad_u32_u24 v40, 0xb0, v40, 0
	s_barrier
	v_add3_u32 v28, v44, v28, v30
	v_mad_u32_u24 v29, 0xb0, v29, 0
	buffer_gl0_inv
	v_add3_u32 v29, v29, v43, v30
	v_mul_f32_e32 v44, v32, v7
	v_mul_f32_e32 v32, v32, v6
	v_fma_f32 v6, v31, v6, -v44
	v_fmac_f32_e32 v32, v31, v7
	v_add3_u32 v31, v39, v41, v30
	v_sub_f32_e32 v6, v23, v6
	v_mul_f32_e32 v39, v34, v13
	v_mul_f32_e32 v34, v34, v12
	v_sub_f32_e32 v7, v24, v32
	v_add3_u32 v32, v40, v42, v30
	v_mul_f32_e32 v40, v36, v15
	v_mul_f32_e32 v36, v36, v14
	;; [unrolled: 1-line block ×4, first 2 shown]
	v_fma_f32 v12, v33, v12, -v39
	v_fmac_f32_e32 v34, v33, v13
	v_fma_f32 v14, v35, v14, -v40
	v_fmac_f32_e32 v36, v35, v15
	;; [unrolled: 2-line block ×3, first 2 shown]
	v_sub_f32_e32 v12, v8, v12
	v_sub_f32_e32 v13, v9, v34
	;; [unrolled: 1-line block ×6, first 2 shown]
	v_fma_f32 v23, v23, 2.0, -v6
	v_fma_f32 v24, v24, 2.0, -v7
	;; [unrolled: 1-line block ×8, first 2 shown]
	ds_write2_b64 v28, v[23:24], v[6:7] offset1:11
	ds_write2_b64 v31, v[8:9], v[12:13] offset1:11
	;; [unrolled: 1-line block ×4, first 2 shown]
	s_and_saveexec_b32 s1, s0
	s_cbranch_execz .LBB0_18
; %bb.17:
	v_add_nc_u16 v4, v19, 0x58
	v_and_b32_e32 v5, 0xff, v4
	v_mul_lo_u16 v5, 0x75, v5
	v_lshrrev_b16 v5, 8, v5
	v_sub_nc_u16 v6, v4, v5
	v_lshrrev_b16 v6, 1, v6
	v_and_b32_e32 v6, 0x7f, v6
	v_add_nc_u16 v5, v6, v5
	v_lshrrev_b16 v5, 3, v5
	v_mul_lo_u16 v5, v5, 11
	v_sub_nc_u16 v4, v4, v5
	v_lshlrev_b32_sdwa v6, v27, v4 dst_sel:DWORD dst_unused:UNUSED_PAD src0_sel:DWORD src1_sel:BYTE_0
	global_load_dwordx2 v[4:5], v6, s[8:9]
	s_waitcnt vmcnt(0)
	v_mul_f32_e32 v7, v2, v5
	v_mul_f32_e32 v5, v3, v5
	v_fmac_f32_e32 v7, v3, v4
	v_fma_f32 v2, v2, v4, -v5
	v_add3_u32 v4, 0, v6, v30
	v_sub_f32_e32 v3, v1, v7
	v_sub_f32_e32 v2, v0, v2
	v_fma_f32 v1, v1, 2.0, -v3
	v_fma_f32 v0, v0, 2.0, -v2
	ds_write2_b64 v4, v[0:1], v[2:3] offset0:176 offset1:187
.LBB0_18:
	s_or_b32 exec_lo, exec_lo, s1
	s_waitcnt lgkmcnt(0)
	s_barrier
	buffer_gl0_inv
	s_and_saveexec_b32 s0, vcc_lo
	s_cbranch_execz .LBB0_20
; %bb.19:
	v_mov_b32_e32 v21, 0
	v_lshlrev_b64 v[16:17], 3, v[16:17]
	v_lshlrev_b64 v[0:1], 3, v[20:21]
	v_mov_b32_e32 v19, v21
	v_lshlrev_b64 v[18:19], 3, v[18:19]
	v_add_co_u32 v12, vcc_lo, s8, v0
	v_add_co_ci_u32_e32 v13, vcc_lo, s9, v1, vcc_lo
	v_add_co_u32 v20, vcc_lo, s2, v16
	s_clause 0x3
	global_load_dwordx4 v[0:3], v[12:13], off offset:88
	global_load_dwordx4 v[4:7], v[12:13], off offset:136
	;; [unrolled: 1-line block ×4, first 2 shown]
	ds_read2_b64 v[27:30], v26 offset0:22 offset1:44
	ds_read2_b64 v[31:34], v26 offset0:154 offset1:176
	;; [unrolled: 1-line block ×4, first 2 shown]
	v_add_co_ci_u32_e32 v21, vcc_lo, s3, v17, vcc_lo
	v_add_co_u32 v18, vcc_lo, v20, v18
	ds_read_b64 v[16:17], v25
	v_add_co_ci_u32_e32 v19, vcc_lo, v21, v19, vcc_lo
	s_waitcnt vmcnt(3) lgkmcnt(4)
	v_mul_f32_e32 v20, v1, v28
	s_waitcnt vmcnt(2) lgkmcnt(3)
	v_mul_f32_e32 v21, v7, v34
	v_mul_f32_e32 v24, v3, v30
	;; [unrolled: 1-line block ×3, first 2 shown]
	s_waitcnt vmcnt(1) lgkmcnt(2)
	v_mul_f32_e32 v26, v11, v38
	s_waitcnt vmcnt(0) lgkmcnt(1)
	v_mul_f32_e32 v43, v13, v40
	v_mul_f32_e32 v32, v4, v32
	;; [unrolled: 1-line block ×11, first 2 shown]
	v_fma_f32 v0, v0, v27, -v20
	v_fma_f32 v6, v6, v33, -v21
	v_fma_f32 v2, v2, v29, -v24
	v_fma_f32 v4, v4, v31, -v25
	v_fma_f32 v10, v10, v37, -v26
	v_fma_f32 v12, v12, v39, -v43
	v_fmac_f32_e32 v32, v31, v5
	v_fmac_f32_e32 v30, v3, v29
	;; [unrolled: 1-line block ×4, first 2 shown]
	v_fma_f32 v8, v8, v35, -v22
	v_fma_f32 v14, v14, v41, -v23
	v_fmac_f32_e32 v40, v13, v39
	v_fmac_f32_e32 v42, v41, v15
	;; [unrolled: 1-line block ×3, first 2 shown]
	v_sub_f32_e32 v3, v0, v6
	v_sub_f32_e32 v7, v2, v4
	;; [unrolled: 1-line block ×3, first 2 shown]
	v_add_f32_e32 v13, v30, v32
	v_add_f32_e32 v20, v28, v34
	;; [unrolled: 1-line block ×4, first 2 shown]
	v_sub_f32_e32 v5, v8, v14
	v_add_f32_e32 v15, v36, v42
	v_sub_f32_e32 v21, v28, v34
	v_add_f32_e32 v8, v8, v14
	v_mul_f32_e32 v2, 0x3f7c1c5c, v9
	v_add_f32_e32 v28, v20, v13
	v_add_f32_e32 v29, v6, v4
	v_fmac_f32_e32 v38, v11, v37
	v_sub_f32_e32 v22, v36, v42
	v_fma_f32 v41, 0xbf248dbb, v7, -v2
	v_add_f32_e32 v2, v15, v28
	v_add_f32_e32 v42, v8, v29
	v_sub_f32_e32 v23, v30, v32
	v_add_f32_e32 v25, v10, v12
	v_mul_f32_e32 v32, 0xbf248dbb, v9
	v_mul_f32_e32 v36, 0x3f7c1c5c, v7
	v_fmac_f32_e32 v41, 0x3f5db3d7, v5
	v_add_f32_e32 v2, v2, v38
	v_add_f32_e32 v10, v42, v10
	v_sub_f32_e32 v24, v38, v40
	v_add_f32_e32 v11, v38, v40
	v_add_f32_e32 v30, v3, v9
	v_fmac_f32_e32 v32, 0x3f7c1c5c, v3
	v_fmac_f32_e32 v36, 0x3f248dbb, v3
	;; [unrolled: 1-line block ×3, first 2 shown]
	v_add_f32_e32 v3, v2, v40
	v_add_f32_e32 v2, v10, v12
	s_waitcnt lgkmcnt(0)
	v_fmamk_f32 v14, v13, 0x3f441b7d, v17
	v_mul_f32_e32 v26, 0x3f7c1c5c, v24
	v_fmamk_f32 v27, v4, 0x3f441b7d, v16
	v_add_f32_e32 v0, v8, v16
	v_fmamk_f32 v33, v11, 0x3f441b7d, v17
	v_mul_f32_e32 v34, 0xbf248dbb, v24
	v_fmamk_f32 v35, v25, 0x3f441b7d, v16
	v_fmamk_f32 v37, v20, 0x3f441b7d, v17
	v_mul_f32_e32 v39, 0x3f7c1c5c, v23
	v_add_f32_e32 v2, v16, v2
	v_fmac_f32_e32 v16, 0x3f441b7d, v6
	v_fmac_f32_e32 v14, 0x3e31d0d4, v11
	v_fma_f32 v26, 0xbf248dbb, v23, -v26
	v_fmac_f32_e32 v27, 0x3e31d0d4, v25
	v_fmac_f32_e32 v33, 0x3e31d0d4, v20
	v_fmac_f32_e32 v34, 0x3f7c1c5c, v21
	v_fmac_f32_e32 v35, 0x3e31d0d4, v6
	v_fmac_f32_e32 v37, 0x3e31d0d4, v13
	v_fmac_f32_e32 v39, 0x3f248dbb, v21
	v_fmac_f32_e32 v16, 0x3e31d0d4, v4
	v_fmac_f32_e32 v14, -0.5, v15
	v_fmac_f32_e32 v26, 0x3f5db3d7, v22
	v_fmac_f32_e32 v27, -0.5, v8
	v_add_f32_e32 v1, v15, v17
	v_add_f32_e32 v31, v21, v24
	;; [unrolled: 1-line block ×4, first 2 shown]
	v_fmac_f32_e32 v32, 0xbf5db3d7, v5
	v_fmac_f32_e32 v33, -0.5, v15
	v_fmac_f32_e32 v34, 0xbf5db3d7, v22
	v_fmac_f32_e32 v35, -0.5, v8
	v_fmac_f32_e32 v36, 0x3f5db3d7, v5
	v_fmac_f32_e32 v37, -0.5, v15
	v_fmac_f32_e32 v39, 0x3f5db3d7, v22
	v_fmac_f32_e32 v16, -0.5, v8
	v_fmac_f32_e32 v14, 0xbf708fb2, v20
	v_fmac_f32_e32 v26, 0x3eaf1d44, v21
	;; [unrolled: 1-line block ×3, first 2 shown]
	v_sub_f32_e32 v30, v30, v7
	v_sub_f32_e32 v31, v31, v23
	v_fmac_f32_e32 v1, -0.5, v28
	v_fmac_f32_e32 v0, -0.5, v29
	v_fmac_f32_e32 v32, 0x3eaf1d44, v7
	v_fmac_f32_e32 v33, 0xbf708fb2, v13
	;; [unrolled: 1-line block ×8, first 2 shown]
	v_sub_f32_e32 v5, v14, v41
	v_add_f32_e32 v4, v26, v27
	v_mul_f32_e32 v38, 0x3f5db3d7, v30
	v_mul_f32_e32 v28, 0x3f5db3d7, v31
	v_fmac_f32_e32 v1, 0xbf5db3d7, v30
	v_fmac_f32_e32 v0, 0x3f5db3d7, v31
	v_add_f32_e32 v3, v17, v3
	v_sub_f32_e32 v9, v33, v32
	v_add_f32_e32 v8, v34, v35
	v_sub_f32_e32 v11, v37, v36
	v_add_f32_e32 v10, v39, v16
	v_fma_f32 v13, 2.0, v41, v5
	v_fma_f32 v12, -2.0, v26, v4
	v_fma_f32 v7, 2.0, v38, v1
	v_fma_f32 v6, -2.0, v28, v0
	;; [unrolled: 2-line block ×3, first 2 shown]
	v_fma_f32 v17, 2.0, v36, v11
	global_store_dwordx2 v[18:19], v[2:3], off
	global_store_dwordx2 v[18:19], v[8:9], off offset:352
	v_fma_f32 v16, -2.0, v39, v10
	global_store_dwordx2 v[18:19], v[10:11], off offset:176
	global_store_dwordx2 v[18:19], v[0:1], off offset:528
	;; [unrolled: 1-line block ×7, first 2 shown]
.LBB0_20:
	s_endpgm
	.section	.rodata,"a",@progbits
	.p2align	6, 0x0
	.amdhsa_kernel fft_rtc_fwd_len198_factors_11_2_9_wgs_110_tpt_22_sp_ip_CI_unitstride_sbrr_dirReg
		.amdhsa_group_segment_fixed_size 0
		.amdhsa_private_segment_fixed_size 0
		.amdhsa_kernarg_size 88
		.amdhsa_user_sgpr_count 6
		.amdhsa_user_sgpr_private_segment_buffer 1
		.amdhsa_user_sgpr_dispatch_ptr 0
		.amdhsa_user_sgpr_queue_ptr 0
		.amdhsa_user_sgpr_kernarg_segment_ptr 1
		.amdhsa_user_sgpr_dispatch_id 0
		.amdhsa_user_sgpr_flat_scratch_init 0
		.amdhsa_user_sgpr_private_segment_size 0
		.amdhsa_wavefront_size32 1
		.amdhsa_uses_dynamic_stack 0
		.amdhsa_system_sgpr_private_segment_wavefront_offset 0
		.amdhsa_system_sgpr_workgroup_id_x 1
		.amdhsa_system_sgpr_workgroup_id_y 0
		.amdhsa_system_sgpr_workgroup_id_z 0
		.amdhsa_system_sgpr_workgroup_info 0
		.amdhsa_system_vgpr_workitem_id 0
		.amdhsa_next_free_vgpr 99
		.amdhsa_next_free_sgpr 21
		.amdhsa_reserve_vcc 1
		.amdhsa_reserve_flat_scratch 0
		.amdhsa_float_round_mode_32 0
		.amdhsa_float_round_mode_16_64 0
		.amdhsa_float_denorm_mode_32 3
		.amdhsa_float_denorm_mode_16_64 3
		.amdhsa_dx10_clamp 1
		.amdhsa_ieee_mode 1
		.amdhsa_fp16_overflow 0
		.amdhsa_workgroup_processor_mode 1
		.amdhsa_memory_ordered 1
		.amdhsa_forward_progress 0
		.amdhsa_shared_vgpr_count 0
		.amdhsa_exception_fp_ieee_invalid_op 0
		.amdhsa_exception_fp_denorm_src 0
		.amdhsa_exception_fp_ieee_div_zero 0
		.amdhsa_exception_fp_ieee_overflow 0
		.amdhsa_exception_fp_ieee_underflow 0
		.amdhsa_exception_fp_ieee_inexact 0
		.amdhsa_exception_int_div_zero 0
	.end_amdhsa_kernel
	.text
.Lfunc_end0:
	.size	fft_rtc_fwd_len198_factors_11_2_9_wgs_110_tpt_22_sp_ip_CI_unitstride_sbrr_dirReg, .Lfunc_end0-fft_rtc_fwd_len198_factors_11_2_9_wgs_110_tpt_22_sp_ip_CI_unitstride_sbrr_dirReg
                                        ; -- End function
	.section	.AMDGPU.csdata,"",@progbits
; Kernel info:
; codeLenInByte = 5472
; NumSgprs: 23
; NumVgprs: 99
; ScratchSize: 0
; MemoryBound: 0
; FloatMode: 240
; IeeeMode: 1
; LDSByteSize: 0 bytes/workgroup (compile time only)
; SGPRBlocks: 2
; VGPRBlocks: 12
; NumSGPRsForWavesPerEU: 23
; NumVGPRsForWavesPerEU: 99
; Occupancy: 9
; WaveLimiterHint : 1
; COMPUTE_PGM_RSRC2:SCRATCH_EN: 0
; COMPUTE_PGM_RSRC2:USER_SGPR: 6
; COMPUTE_PGM_RSRC2:TRAP_HANDLER: 0
; COMPUTE_PGM_RSRC2:TGID_X_EN: 1
; COMPUTE_PGM_RSRC2:TGID_Y_EN: 0
; COMPUTE_PGM_RSRC2:TGID_Z_EN: 0
; COMPUTE_PGM_RSRC2:TIDIG_COMP_CNT: 0
	.text
	.p2alignl 6, 3214868480
	.fill 48, 4, 3214868480
	.type	__hip_cuid_d496de7ced959838,@object ; @__hip_cuid_d496de7ced959838
	.section	.bss,"aw",@nobits
	.globl	__hip_cuid_d496de7ced959838
__hip_cuid_d496de7ced959838:
	.byte	0                               ; 0x0
	.size	__hip_cuid_d496de7ced959838, 1

	.ident	"AMD clang version 19.0.0git (https://github.com/RadeonOpenCompute/llvm-project roc-6.4.0 25133 c7fe45cf4b819c5991fe208aaa96edf142730f1d)"
	.section	".note.GNU-stack","",@progbits
	.addrsig
	.addrsig_sym __hip_cuid_d496de7ced959838
	.amdgpu_metadata
---
amdhsa.kernels:
  - .args:
      - .actual_access:  read_only
        .address_space:  global
        .offset:         0
        .size:           8
        .value_kind:     global_buffer
      - .offset:         8
        .size:           8
        .value_kind:     by_value
      - .actual_access:  read_only
        .address_space:  global
        .offset:         16
        .size:           8
        .value_kind:     global_buffer
      - .actual_access:  read_only
        .address_space:  global
        .offset:         24
        .size:           8
        .value_kind:     global_buffer
      - .offset:         32
        .size:           8
        .value_kind:     by_value
      - .actual_access:  read_only
        .address_space:  global
        .offset:         40
        .size:           8
        .value_kind:     global_buffer
      - .actual_access:  read_only
        .address_space:  global
        .offset:         48
        .size:           8
        .value_kind:     global_buffer
      - .offset:         56
        .size:           4
        .value_kind:     by_value
      - .actual_access:  read_only
        .address_space:  global
        .offset:         64
        .size:           8
        .value_kind:     global_buffer
      - .actual_access:  read_only
        .address_space:  global
        .offset:         72
        .size:           8
        .value_kind:     global_buffer
      - .address_space:  global
        .offset:         80
        .size:           8
        .value_kind:     global_buffer
    .group_segment_fixed_size: 0
    .kernarg_segment_align: 8
    .kernarg_segment_size: 88
    .language:       OpenCL C
    .language_version:
      - 2
      - 0
    .max_flat_workgroup_size: 110
    .name:           fft_rtc_fwd_len198_factors_11_2_9_wgs_110_tpt_22_sp_ip_CI_unitstride_sbrr_dirReg
    .private_segment_fixed_size: 0
    .sgpr_count:     23
    .sgpr_spill_count: 0
    .symbol:         fft_rtc_fwd_len198_factors_11_2_9_wgs_110_tpt_22_sp_ip_CI_unitstride_sbrr_dirReg.kd
    .uniform_work_group_size: 1
    .uses_dynamic_stack: false
    .vgpr_count:     99
    .vgpr_spill_count: 0
    .wavefront_size: 32
    .workgroup_processor_mode: 1
amdhsa.target:   amdgcn-amd-amdhsa--gfx1030
amdhsa.version:
  - 1
  - 2
...

	.end_amdgpu_metadata
